;; amdgpu-corpus repo=ROCm/rocFFT kind=compiled arch=gfx1030 opt=O3
	.text
	.amdgcn_target "amdgcn-amd-amdhsa--gfx1030"
	.amdhsa_code_object_version 6
	.protected	fft_rtc_back_len1800_factors_10_6_10_3_wgs_180_tpt_180_halfLds_dp_op_CI_CI_unitstride_sbrr_dirReg ; -- Begin function fft_rtc_back_len1800_factors_10_6_10_3_wgs_180_tpt_180_halfLds_dp_op_CI_CI_unitstride_sbrr_dirReg
	.globl	fft_rtc_back_len1800_factors_10_6_10_3_wgs_180_tpt_180_halfLds_dp_op_CI_CI_unitstride_sbrr_dirReg
	.p2align	8
	.type	fft_rtc_back_len1800_factors_10_6_10_3_wgs_180_tpt_180_halfLds_dp_op_CI_CI_unitstride_sbrr_dirReg,@function
fft_rtc_back_len1800_factors_10_6_10_3_wgs_180_tpt_180_halfLds_dp_op_CI_CI_unitstride_sbrr_dirReg: ; @fft_rtc_back_len1800_factors_10_6_10_3_wgs_180_tpt_180_halfLds_dp_op_CI_CI_unitstride_sbrr_dirReg
; %bb.0:
	s_clause 0x2
	s_load_dwordx4 s[8:11], s[4:5], 0x0
	s_load_dwordx4 s[12:15], s[4:5], 0x58
	;; [unrolled: 1-line block ×3, first 2 shown]
	v_mul_u32_u24_e32 v1, 0x16d, v0
	v_mov_b32_e32 v3, 0
	v_add_nc_u32_sdwa v5, s6, v1 dst_sel:DWORD dst_unused:UNUSED_PAD src0_sel:DWORD src1_sel:WORD_1
	v_mov_b32_e32 v1, 0
	v_mov_b32_e32 v6, v3
	v_mov_b32_e32 v2, 0
	s_waitcnt lgkmcnt(0)
	v_cmp_lt_u64_e64 s0, s[10:11], 2
	s_and_b32 vcc_lo, exec_lo, s0
	s_cbranch_vccnz .LBB0_8
; %bb.1:
	s_load_dwordx2 s[0:1], s[4:5], 0x10
	v_mov_b32_e32 v1, 0
	v_mov_b32_e32 v2, 0
	s_add_u32 s2, s18, 8
	s_addc_u32 s3, s19, 0
	s_add_u32 s6, s16, 8
	s_addc_u32 s7, s17, 0
	v_mov_b32_e32 v47, v2
	v_mov_b32_e32 v46, v1
	s_mov_b64 s[22:23], 1
	s_waitcnt lgkmcnt(0)
	s_add_u32 s20, s0, 8
	s_addc_u32 s21, s1, 0
.LBB0_2:                                ; =>This Inner Loop Header: Depth=1
	s_load_dwordx2 s[24:25], s[20:21], 0x0
                                        ; implicit-def: $vgpr48_vgpr49
	s_mov_b32 s0, exec_lo
	s_waitcnt lgkmcnt(0)
	v_or_b32_e32 v4, s25, v6
	v_cmpx_ne_u64_e32 0, v[3:4]
	s_xor_b32 s1, exec_lo, s0
	s_cbranch_execz .LBB0_4
; %bb.3:                                ;   in Loop: Header=BB0_2 Depth=1
	v_cvt_f32_u32_e32 v4, s24
	v_cvt_f32_u32_e32 v7, s25
	s_sub_u32 s0, 0, s24
	s_subb_u32 s26, 0, s25
	v_fmac_f32_e32 v4, 0x4f800000, v7
	v_rcp_f32_e32 v4, v4
	v_mul_f32_e32 v4, 0x5f7ffffc, v4
	v_mul_f32_e32 v7, 0x2f800000, v4
	v_trunc_f32_e32 v7, v7
	v_fmac_f32_e32 v4, 0xcf800000, v7
	v_cvt_u32_f32_e32 v7, v7
	v_cvt_u32_f32_e32 v4, v4
	v_mul_lo_u32 v8, s0, v7
	v_mul_hi_u32 v9, s0, v4
	v_mul_lo_u32 v10, s26, v4
	v_add_nc_u32_e32 v8, v9, v8
	v_mul_lo_u32 v9, s0, v4
	v_add_nc_u32_e32 v8, v8, v10
	v_mul_hi_u32 v10, v4, v9
	v_mul_lo_u32 v11, v4, v8
	v_mul_hi_u32 v12, v4, v8
	v_mul_hi_u32 v13, v7, v9
	v_mul_lo_u32 v9, v7, v9
	v_mul_hi_u32 v14, v7, v8
	v_mul_lo_u32 v8, v7, v8
	v_add_co_u32 v10, vcc_lo, v10, v11
	v_add_co_ci_u32_e32 v11, vcc_lo, 0, v12, vcc_lo
	v_add_co_u32 v9, vcc_lo, v10, v9
	v_add_co_ci_u32_e32 v9, vcc_lo, v11, v13, vcc_lo
	v_add_co_ci_u32_e32 v10, vcc_lo, 0, v14, vcc_lo
	v_add_co_u32 v8, vcc_lo, v9, v8
	v_add_co_ci_u32_e32 v9, vcc_lo, 0, v10, vcc_lo
	v_add_co_u32 v4, vcc_lo, v4, v8
	v_add_co_ci_u32_e32 v7, vcc_lo, v7, v9, vcc_lo
	v_mul_hi_u32 v8, s0, v4
	v_mul_lo_u32 v10, s26, v4
	v_mul_lo_u32 v9, s0, v7
	v_add_nc_u32_e32 v8, v8, v9
	v_mul_lo_u32 v9, s0, v4
	v_add_nc_u32_e32 v8, v8, v10
	v_mul_hi_u32 v10, v4, v9
	v_mul_lo_u32 v11, v4, v8
	v_mul_hi_u32 v12, v4, v8
	v_mul_hi_u32 v13, v7, v9
	v_mul_lo_u32 v9, v7, v9
	v_mul_hi_u32 v14, v7, v8
	v_mul_lo_u32 v8, v7, v8
	v_add_co_u32 v10, vcc_lo, v10, v11
	v_add_co_ci_u32_e32 v11, vcc_lo, 0, v12, vcc_lo
	v_add_co_u32 v9, vcc_lo, v10, v9
	v_add_co_ci_u32_e32 v9, vcc_lo, v11, v13, vcc_lo
	v_add_co_ci_u32_e32 v10, vcc_lo, 0, v14, vcc_lo
	v_add_co_u32 v8, vcc_lo, v9, v8
	v_add_co_ci_u32_e32 v9, vcc_lo, 0, v10, vcc_lo
	v_add_co_u32 v4, vcc_lo, v4, v8
	v_add_co_ci_u32_e32 v11, vcc_lo, v7, v9, vcc_lo
	v_mul_hi_u32 v13, v5, v4
	v_mad_u64_u32 v[9:10], null, v6, v4, 0
	v_mad_u64_u32 v[7:8], null, v5, v11, 0
	;; [unrolled: 1-line block ×3, first 2 shown]
	v_add_co_u32 v4, vcc_lo, v13, v7
	v_add_co_ci_u32_e32 v7, vcc_lo, 0, v8, vcc_lo
	v_add_co_u32 v4, vcc_lo, v4, v9
	v_add_co_ci_u32_e32 v4, vcc_lo, v7, v10, vcc_lo
	v_add_co_ci_u32_e32 v7, vcc_lo, 0, v12, vcc_lo
	v_add_co_u32 v4, vcc_lo, v4, v11
	v_add_co_ci_u32_e32 v9, vcc_lo, 0, v7, vcc_lo
	v_mul_lo_u32 v10, s25, v4
	v_mad_u64_u32 v[7:8], null, s24, v4, 0
	v_mul_lo_u32 v11, s24, v9
	v_sub_co_u32 v7, vcc_lo, v5, v7
	v_add3_u32 v8, v8, v11, v10
	v_sub_nc_u32_e32 v10, v6, v8
	v_subrev_co_ci_u32_e64 v10, s0, s25, v10, vcc_lo
	v_add_co_u32 v11, s0, v4, 2
	v_add_co_ci_u32_e64 v12, s0, 0, v9, s0
	v_sub_co_u32 v13, s0, v7, s24
	v_sub_co_ci_u32_e32 v8, vcc_lo, v6, v8, vcc_lo
	v_subrev_co_ci_u32_e64 v10, s0, 0, v10, s0
	v_cmp_le_u32_e32 vcc_lo, s24, v13
	v_cmp_eq_u32_e64 s0, s25, v8
	v_cndmask_b32_e64 v13, 0, -1, vcc_lo
	v_cmp_le_u32_e32 vcc_lo, s25, v10
	v_cndmask_b32_e64 v14, 0, -1, vcc_lo
	v_cmp_le_u32_e32 vcc_lo, s24, v7
	;; [unrolled: 2-line block ×3, first 2 shown]
	v_cndmask_b32_e64 v15, 0, -1, vcc_lo
	v_cmp_eq_u32_e32 vcc_lo, s25, v10
	v_cndmask_b32_e64 v7, v15, v7, s0
	v_cndmask_b32_e32 v10, v14, v13, vcc_lo
	v_add_co_u32 v13, vcc_lo, v4, 1
	v_add_co_ci_u32_e32 v14, vcc_lo, 0, v9, vcc_lo
	v_cmp_ne_u32_e32 vcc_lo, 0, v10
	v_cndmask_b32_e32 v8, v14, v12, vcc_lo
	v_cndmask_b32_e32 v10, v13, v11, vcc_lo
	v_cmp_ne_u32_e32 vcc_lo, 0, v7
	v_cndmask_b32_e32 v49, v9, v8, vcc_lo
	v_cndmask_b32_e32 v48, v4, v10, vcc_lo
.LBB0_4:                                ;   in Loop: Header=BB0_2 Depth=1
	s_andn2_saveexec_b32 s0, s1
	s_cbranch_execz .LBB0_6
; %bb.5:                                ;   in Loop: Header=BB0_2 Depth=1
	v_cvt_f32_u32_e32 v4, s24
	s_sub_i32 s1, 0, s24
	v_mov_b32_e32 v49, v3
	v_rcp_iflag_f32_e32 v4, v4
	v_mul_f32_e32 v4, 0x4f7ffffe, v4
	v_cvt_u32_f32_e32 v4, v4
	v_mul_lo_u32 v7, s1, v4
	v_mul_hi_u32 v7, v4, v7
	v_add_nc_u32_e32 v4, v4, v7
	v_mul_hi_u32 v4, v5, v4
	v_mul_lo_u32 v7, v4, s24
	v_add_nc_u32_e32 v8, 1, v4
	v_sub_nc_u32_e32 v7, v5, v7
	v_subrev_nc_u32_e32 v9, s24, v7
	v_cmp_le_u32_e32 vcc_lo, s24, v7
	v_cndmask_b32_e32 v7, v7, v9, vcc_lo
	v_cndmask_b32_e32 v4, v4, v8, vcc_lo
	v_cmp_le_u32_e32 vcc_lo, s24, v7
	v_add_nc_u32_e32 v8, 1, v4
	v_cndmask_b32_e32 v48, v4, v8, vcc_lo
.LBB0_6:                                ;   in Loop: Header=BB0_2 Depth=1
	s_or_b32 exec_lo, exec_lo, s0
	v_mul_lo_u32 v4, v49, s24
	v_mul_lo_u32 v9, v48, s25
	s_load_dwordx2 s[0:1], s[6:7], 0x0
	v_mad_u64_u32 v[7:8], null, v48, s24, 0
	s_load_dwordx2 s[24:25], s[2:3], 0x0
	s_add_u32 s22, s22, 1
	s_addc_u32 s23, s23, 0
	s_add_u32 s2, s2, 8
	s_addc_u32 s3, s3, 0
	s_add_u32 s6, s6, 8
	v_add3_u32 v4, v8, v9, v4
	v_sub_co_u32 v5, vcc_lo, v5, v7
	s_addc_u32 s7, s7, 0
	s_add_u32 s20, s20, 8
	v_sub_co_ci_u32_e32 v4, vcc_lo, v6, v4, vcc_lo
	s_addc_u32 s21, s21, 0
	s_waitcnt lgkmcnt(0)
	v_mul_lo_u32 v6, s0, v4
	v_mul_lo_u32 v7, s1, v5
	v_mad_u64_u32 v[1:2], null, s0, v5, v[1:2]
	v_mul_lo_u32 v4, s24, v4
	v_mul_lo_u32 v8, s25, v5
	v_mad_u64_u32 v[46:47], null, s24, v5, v[46:47]
	v_cmp_ge_u64_e64 s0, s[22:23], s[10:11]
	v_add3_u32 v2, v7, v2, v6
	v_add3_u32 v47, v8, v47, v4
	s_and_b32 vcc_lo, exec_lo, s0
	s_cbranch_vccnz .LBB0_9
; %bb.7:                                ;   in Loop: Header=BB0_2 Depth=1
	v_mov_b32_e32 v5, v48
	v_mov_b32_e32 v6, v49
	s_branch .LBB0_2
.LBB0_8:
	v_mov_b32_e32 v47, v2
	v_mov_b32_e32 v49, v6
	;; [unrolled: 1-line block ×4, first 2 shown]
.LBB0_9:
	s_load_dwordx2 s[0:1], s[4:5], 0x28
	v_mul_hi_u32 v3, 0x16c16c2, v0
	s_lshl_b64 s[4:5], s[10:11], 3
                                        ; implicit-def: $vgpr76
	s_add_u32 s2, s18, s4
	s_addc_u32 s3, s19, s5
	s_waitcnt lgkmcnt(0)
	v_cmp_gt_u64_e32 vcc_lo, s[0:1], v[48:49]
	v_cmp_le_u64_e64 s0, s[0:1], v[48:49]
	s_and_saveexec_b32 s1, s0
	s_xor_b32 s0, exec_lo, s1
; %bb.10:
	v_mul_u32_u24_e32 v1, 0xb4, v3
                                        ; implicit-def: $vgpr3
	v_sub_nc_u32_e32 v76, v0, v1
                                        ; implicit-def: $vgpr0
                                        ; implicit-def: $vgpr1_vgpr2
; %bb.11:
	s_or_saveexec_b32 s1, s0
                                        ; implicit-def: $vgpr12_vgpr13
                                        ; implicit-def: $vgpr6_vgpr7
                                        ; implicit-def: $vgpr16_vgpr17
                                        ; implicit-def: $vgpr20_vgpr21
                                        ; implicit-def: $vgpr40_vgpr41
                                        ; implicit-def: $vgpr44_vgpr45
                                        ; implicit-def: $vgpr36_vgpr37
                                        ; implicit-def: $vgpr24_vgpr25
                                        ; implicit-def: $vgpr32_vgpr33
                                        ; implicit-def: $vgpr28_vgpr29
	s_xor_b32 exec_lo, exec_lo, s1
	s_cbranch_execz .LBB0_13
; %bb.12:
	s_add_u32 s4, s16, s4
	s_addc_u32 s5, s17, s5
	v_lshlrev_b64 v[1:2], 4, v[1:2]
	s_load_dwordx2 s[4:5], s[4:5], 0x0
	s_waitcnt lgkmcnt(0)
	v_mul_lo_u32 v6, s5, v48
	v_mul_lo_u32 v7, s4, v49
	v_mad_u64_u32 v[4:5], null, s4, v48, 0
	v_add3_u32 v5, v5, v7, v6
	v_mul_u32_u24_e32 v6, 0xb4, v3
	v_lshlrev_b64 v[3:4], 4, v[4:5]
	v_sub_nc_u32_e32 v76, v0, v6
	v_add_co_u32 v0, s0, s12, v3
	v_add_co_ci_u32_e64 v3, s0, s13, v4, s0
	v_lshlrev_b32_e32 v4, 4, v76
	v_add_co_u32 v0, s0, v0, v1
	v_add_co_ci_u32_e64 v1, s0, v3, v2, s0
	v_add_co_u32 v0, s0, v0, v4
	v_add_co_ci_u32_e64 v1, s0, 0, v1, s0
	;; [unrolled: 2-line block ×10, first 2 shown]
	s_clause 0x3
	global_load_dwordx4 v[26:29], v[0:1], off
	global_load_dwordx4 v[30:33], v[2:3], off offset:832
	global_load_dwordx4 v[22:25], v[4:5], off offset:1664
	;; [unrolled: 1-line block ×3, first 2 shown]
	v_add_co_u32 v0, s0, 0x6000, v0
	v_add_co_ci_u32_e64 v1, s0, 0, v1, s0
	s_clause 0x5
	global_load_dwordx4 v[42:45], v[8:9], off offset:1280
	global_load_dwordx4 v[38:41], v[10:11], off offset:64
	global_load_dwordx4 v[18:21], v[12:13], off offset:896
	global_load_dwordx4 v[14:17], v[14:15], off offset:1728
	global_load_dwordx4 v[4:7], v[50:51], off offset:512
	global_load_dwordx4 v[10:13], v[0:1], off offset:1344
.LBB0_13:
	s_or_b32 exec_lo, exec_lo, s1
	s_waitcnt vmcnt(2)
	v_add_f64 v[0:1], v[16:17], v[40:41]
	s_waitcnt vmcnt(0)
	v_add_f64 v[2:3], v[12:13], v[36:37]
	v_add_f64 v[8:9], v[14:15], v[38:39]
	v_add_f64 v[52:53], v[34:35], -v[10:11]
	v_add_f64 v[50:51], v[10:11], v[34:35]
	v_add_f64 v[54:55], v[38:39], -v[14:15]
	s_mov_b32 s12, 0x134454ff
	s_mov_b32 s13, 0xbfee6f0e
	s_mov_b32 s5, 0x3fee6f0e
	s_mov_b32 s4, s12
	v_add_f64 v[58:59], v[36:37], -v[40:41]
	v_add_f64 v[60:61], v[12:13], -v[16:17]
	v_add_f64 v[66:67], v[18:19], v[42:43]
	v_add_f64 v[70:71], v[36:37], -v[12:13]
	v_add_f64 v[62:63], v[40:41], -v[36:37]
	;; [unrolled: 1-line block ×3, first 2 shown]
	v_add_f64 v[68:69], v[4:5], v[22:23]
	v_add_f64 v[72:73], v[40:41], -v[16:17]
	s_mov_b32 s10, 0x4755a5e
	s_mov_b32 s11, 0xbfe2cf23
	;; [unrolled: 1-line block ×4, first 2 shown]
	v_fma_f64 v[0:1], v[0:1], -0.5, v[32:33]
	v_fma_f64 v[2:3], v[2:3], -0.5, v[32:33]
	;; [unrolled: 1-line block ×3, first 2 shown]
	v_add_f64 v[56:57], v[34:35], -v[38:39]
	v_fma_f64 v[50:51], v[50:51], -0.5, v[30:31]
	v_add_f64 v[79:80], v[10:11], -v[14:15]
	v_add_f64 v[81:82], v[38:39], -v[34:35]
	;; [unrolled: 1-line block ×4, first 2 shown]
	v_add_f64 v[89:90], v[22:23], v[26:27]
	v_add_f64 v[30:31], v[34:35], v[30:31]
	v_add_f64 v[87:88], v[44:45], -v[20:21]
	v_fma_f64 v[34:35], v[66:67], -0.5, v[26:27]
	v_add_f64 v[66:67], v[60:61], v[58:59]
	s_mov_b32 s16, 0x372fe950
	v_add_f64 v[62:63], v[64:65], v[62:63]
	v_fma_f64 v[26:27], v[68:69], -0.5, v[26:27]
	s_mov_b32 s17, 0x3fd3c6ef
	s_mov_b32 s18, 0x9b97f4a8
	;; [unrolled: 1-line block ×5, first 2 shown]
	v_fma_f64 v[74:75], v[52:53], s[4:5], v[0:1]
	v_fma_f64 v[77:78], v[54:55], s[12:13], v[2:3]
	;; [unrolled: 1-line block ×8, first 2 shown]
	v_add_f64 v[56:57], v[79:80], v[56:57]
	v_add_f64 v[79:80], v[83:84], v[81:82]
	;; [unrolled: 1-line block ×4, first 2 shown]
	v_fma_f64 v[38:39], v[85:86], s[12:13], v[34:35]
	v_fma_f64 v[34:35], v[85:86], s[4:5], v[34:35]
	s_mov_b32 s21, 0xbfe9e377
	s_mov_b32 s20, s18
	v_fma_f64 v[83:84], v[87:88], s[4:5], v[26:27]
	v_fma_f64 v[26:27], v[87:88], s[12:13], v[26:27]
	s_load_dwordx2 s[2:3], s[2:3], 0x0
	v_fma_f64 v[60:61], v[54:55], s[6:7], v[74:75]
	v_fma_f64 v[68:69], v[52:53], s[6:7], v[77:78]
	;; [unrolled: 1-line block ×4, first 2 shown]
	v_add_f64 v[52:53], v[22:23], -v[42:43]
	v_add_f64 v[54:55], v[4:5], -v[18:19]
	v_fma_f64 v[89:90], v[72:73], s[10:11], v[58:59]
	v_fma_f64 v[8:9], v[72:73], s[6:7], v[8:9]
	v_add_f64 v[74:75], v[42:43], -v[22:23]
	v_add_f64 v[77:78], v[18:19], -v[4:5]
	v_fma_f64 v[72:73], v[70:71], s[10:11], v[64:65]
	v_fma_f64 v[50:51], v[70:71], s[6:7], v[50:51]
	v_add_f64 v[30:31], v[14:15], v[30:31]
	v_fma_f64 v[38:39], v[87:88], s[10:11], v[38:39]
	v_fma_f64 v[34:35], v[87:88], s[6:7], v[34:35]
	;; [unrolled: 1-line block ×7, first 2 shown]
	v_add_f64 v[0:1], v[54:55], v[52:53]
	v_add_f64 v[52:53], v[18:19], v[81:82]
	v_fma_f64 v[66:67], v[56:57], s[16:17], v[89:90]
	v_fma_f64 v[14:15], v[56:57], s[16:17], v[8:9]
	v_add_f64 v[2:3], v[77:78], v[74:75]
	v_fma_f64 v[54:55], v[85:86], s[10:11], v[83:84]
	v_fma_f64 v[70:71], v[79:80], s[16:17], v[72:73]
	;; [unrolled: 1-line block ×3, first 2 shown]
	v_add_f64 v[10:11], v[10:11], v[30:31]
	v_mul_f64 v[8:9], v[58:59], s[10:11]
	v_mul_f64 v[56:57], v[60:61], s[12:13]
	;; [unrolled: 1-line block ×4, first 2 shown]
	v_fma_f64 v[30:31], v[0:1], s[16:17], v[38:39]
	v_add_f64 v[52:53], v[4:5], v[52:53]
	v_fma_f64 v[34:35], v[0:1], s[16:17], v[34:35]
	v_fma_f64 v[26:27], v[2:3], s[16:17], v[26:27]
	;; [unrolled: 1-line block ×7, first 2 shown]
	v_cmp_gt_u32_e64 s0, 0x78, v76
	v_add_f64 v[50:51], v[10:11], v[52:53]
	v_add_f64 v[56:57], v[52:53], -v[10:11]
	v_add_f64 v[52:53], v[30:31], v[0:1]
	v_add_f64 v[0:1], v[30:31], -v[0:1]
	v_add_f64 v[77:78], v[8:9], v[38:39]
	v_add_f64 v[79:80], v[26:27], v[74:75]
	;; [unrolled: 1-line block ×3, first 2 shown]
	v_add_f64 v[2:3], v[8:9], -v[38:39]
	v_add_f64 v[8:9], v[26:27], -v[74:75]
	;; [unrolled: 1-line block ×3, first 2 shown]
	v_mul_u32_u24_e32 v26, 10, v76
	v_lshl_add_u32 v72, v26, 3, 0
	ds_write_b128 v72, v[50:53]
	ds_write_b128 v72, v[77:80] offset:16
	ds_write_b128 v72, v[54:57] offset:32
	;; [unrolled: 1-line block ×4, first 2 shown]
	v_mad_i32_i24 v73, 0xffffffb8, v76, v72
	s_waitcnt lgkmcnt(0)
	s_barrier
	buffer_gl0_inv
	ds_read_b64 v[26:27], v73
	ds_read_b64 v[30:31], v73 offset:2400
	ds_read_b64 v[34:35], v73 offset:4800
	;; [unrolled: 1-line block ×5, first 2 shown]
	v_mul_i32_i24_e32 v50, 0xffffffb8, v76
                                        ; implicit-def: $vgpr56_vgpr57
	v_add_nc_u32_e32 v77, v72, v50
                                        ; implicit-def: $vgpr50_vgpr51
	s_and_saveexec_b32 s1, s0
	s_cbranch_execz .LBB0_15
; %bb.14:
	ds_read_b64 v[0:1], v77 offset:1440
	ds_read_b64 v[2:3], v77 offset:3840
	;; [unrolled: 1-line block ×6, first 2 shown]
.LBB0_15:
	s_or_b32 exec_lo, exec_lo, s1
	v_add_f64 v[73:74], v[20:21], v[44:45]
	v_add_f64 v[78:79], v[6:7], v[24:25]
	;; [unrolled: 1-line block ×3, first 2 shown]
	v_add_f64 v[4:5], v[22:23], -v[4:5]
	v_add_f64 v[22:23], v[36:37], v[32:33]
	v_add_f64 v[18:19], v[42:43], -v[18:19]
	v_add_f64 v[36:37], v[24:25], -v[44:45]
	;; [unrolled: 1-line block ×4, first 2 shown]
	v_mul_f64 v[66:67], v[66:67], s[6:7]
	v_mul_f64 v[70:71], v[70:71], s[4:5]
	;; [unrolled: 1-line block ×4, first 2 shown]
	s_waitcnt lgkmcnt(0)
	s_barrier
	buffer_gl0_inv
	v_fma_f64 v[32:33], v[73:74], -0.5, v[28:29]
	v_fma_f64 v[28:29], v[78:79], -0.5, v[28:29]
	v_add_f64 v[44:45], v[44:45], v[80:81]
	v_add_f64 v[22:23], v[40:41], v[22:23]
	v_add_f64 v[40:41], v[20:21], -v[6:7]
	v_add_f64 v[36:37], v[42:43], v[36:37]
	v_fma_f64 v[14:15], v[14:15], s[6:7], -v[62:63]
	v_fma_f64 v[73:74], v[4:5], s[4:5], v[32:33]
	v_fma_f64 v[78:79], v[18:19], s[12:13], v[28:29]
	;; [unrolled: 1-line block ×4, first 2 shown]
	v_add_f64 v[20:21], v[20:21], v[44:45]
	v_add_f64 v[16:17], v[16:17], v[22:23]
	;; [unrolled: 1-line block ×3, first 2 shown]
	v_fma_f64 v[44:45], v[68:69], s[4:5], -v[64:65]
	v_fma_f64 v[24:25], v[18:19], s[6:7], v[73:74]
	v_fma_f64 v[40:41], v[4:5], s[6:7], v[78:79]
	;; [unrolled: 1-line block ×5, first 2 shown]
	v_add_f64 v[6:7], v[6:7], v[20:21]
	v_add_f64 v[12:13], v[12:13], v[16:17]
	v_fma_f64 v[32:33], v[60:61], s[16:17], v[70:71]
	v_fma_f64 v[24:25], v[36:37], s[16:17], v[24:25]
	;; [unrolled: 1-line block ×5, first 2 shown]
	v_add_f64 v[16:17], v[12:13], v[6:7]
	v_add_f64 v[22:23], v[6:7], -v[12:13]
	v_add_f64 v[18:19], v[24:25], v[28:29]
	v_add_f64 v[40:41], v[58:59], v[32:33]
	;; [unrolled: 1-line block ×4, first 2 shown]
	v_add_f64 v[4:5], v[24:25], -v[28:29]
	v_add_f64 v[6:7], v[58:59], -v[32:33]
	;; [unrolled: 1-line block ×4, first 2 shown]
	ds_write_b128 v72, v[16:19]
	ds_write_b128 v72, v[40:43] offset:16
	ds_write_b128 v72, v[20:23] offset:32
	;; [unrolled: 1-line block ×4, first 2 shown]
	s_waitcnt lgkmcnt(0)
	s_barrier
	buffer_gl0_inv
	ds_read_b64 v[16:17], v77
	ds_read_b64 v[32:33], v77 offset:2400
	ds_read_b64 v[18:19], v77 offset:4800
	;; [unrolled: 1-line block ×5, first 2 shown]
                                        ; implicit-def: $vgpr40_vgpr41
                                        ; implicit-def: $vgpr22_vgpr23
	s_and_saveexec_b32 s1, s0
	s_cbranch_execz .LBB0_17
; %bb.16:
	ds_read_b64 v[4:5], v77 offset:1440
	ds_read_b64 v[6:7], v77 offset:3840
	ds_read_b64 v[12:13], v77 offset:6240
	ds_read_b64 v[14:15], v77 offset:8640
	ds_read_b64 v[22:23], v77 offset:11040
	ds_read_b64 v[40:41], v77 offset:13440
.LBB0_17:
	s_or_b32 exec_lo, exec_lo, s1
	v_and_b32_e32 v72, 0xff, v76
	v_add_nc_u32_e32 v78, 0xb4, v76
	v_mov_b32_e32 v36, 0xcccd
	s_mov_b32 s4, 0xe8584caa
	s_mov_b32 s5, 0xbfebb67a
	v_mul_lo_u16 v37, 0xcd, v72
	s_mov_b32 s7, 0x3febb67a
	v_mul_u32_u24_sdwa v36, v78, v36 dst_sel:DWORD dst_unused:UNUSED_PAD src0_sel:WORD_0 src1_sel:DWORD
	s_mov_b32 s6, s4
	v_lshrrev_b16 v109, 11, v37
	v_mov_b32_e32 v37, 5
	v_lshrrev_b32_e32 v110, 19, v36
	v_mul_lo_u16 v36, v109, 10
	v_mul_lo_u16 v42, v110, 10
	v_sub_nc_u16 v111, v76, v36
	v_sub_nc_u16 v73, v78, v42
	v_mul_u32_u24_sdwa v36, v111, v37 dst_sel:DWORD dst_unused:UNUSED_PAD src0_sel:BYTE_0 src1_sel:DWORD
	v_mul_u32_u24_sdwa v37, v73, v37 dst_sel:DWORD dst_unused:UNUSED_PAD src0_sel:WORD_0 src1_sel:DWORD
	v_lshlrev_b32_e32 v36, 4, v36
	v_lshlrev_b32_e32 v37, 4, v37
	s_clause 0x9
	global_load_dwordx4 v[42:45], v36, s[8:9] offset:32
	global_load_dwordx4 v[58:61], v36, s[8:9] offset:64
	;; [unrolled: 1-line block ×4, first 2 shown]
	global_load_dwordx4 v[79:82], v36, s[8:9]
	global_load_dwordx4 v[83:86], v37, s[8:9]
	global_load_dwordx4 v[87:90], v36, s[8:9] offset:16
	global_load_dwordx4 v[91:94], v36, s[8:9] offset:48
	global_load_dwordx4 v[95:98], v37, s[8:9] offset:16
	global_load_dwordx4 v[99:102], v37, s[8:9] offset:48
	s_waitcnt vmcnt(0) lgkmcnt(0)
	s_barrier
	buffer_gl0_inv
	v_mul_f64 v[36:37], v[54:55], v[44:45]
	v_mul_f64 v[70:71], v[52:53], v[60:61]
	;; [unrolled: 1-line block ×9, first 2 shown]
	v_fma_f64 v[36:37], v[24:25], v[42:43], -v[36:37]
	v_fma_f64 v[28:29], v[28:29], v[58:59], -v[70:71]
	;; [unrolled: 1-line block ×3, first 2 shown]
	v_mul_f64 v[70:71], v[2:3], v[85:86]
	v_fma_f64 v[40:41], v[14:15], v[66:67], -v[103:104]
	v_fma_f64 v[74:75], v[54:55], v[42:43], v[44:45]
	v_mul_f64 v[54:55], v[32:33], v[81:82]
	v_mul_f64 v[81:82], v[18:19], v[89:90]
	;; [unrolled: 1-line block ×3, first 2 shown]
	v_fma_f64 v[107:108], v[52:53], v[58:59], v[60:61]
	v_mul_f64 v[52:53], v[6:7], v[85:86]
	v_mul_f64 v[58:59], v[12:13], v[97:98]
	v_mul_f64 v[60:61], v[22:23], v[101:102]
	v_fma_f64 v[14:15], v[32:33], v[79:80], -v[105:106]
	v_fma_f64 v[44:45], v[56:57], v[62:63], v[64:65]
	v_fma_f64 v[10:11], v[10:11], v[66:67], v[68:69]
	v_mul_f64 v[62:63], v[34:35], v[89:90]
	v_mul_f64 v[64:65], v[38:39], v[93:94]
	;; [unrolled: 1-line block ×4, first 2 shown]
	v_add_f64 v[32:33], v[36:37], v[28:29]
	v_fma_f64 v[42:43], v[6:7], v[83:84], -v[70:71]
	v_add_f64 v[56:57], v[40:41], v[24:25]
	v_fma_f64 v[70:71], v[30:31], v[79:80], v[54:55]
	v_fma_f64 v[30:31], v[34:35], v[87:88], v[81:82]
	;; [unrolled: 1-line block ×3, first 2 shown]
	v_add_f64 v[34:35], v[74:75], v[107:108]
	v_fma_f64 v[52:53], v[2:3], v[83:84], v[52:53]
	v_fma_f64 v[2:3], v[8:9], v[95:96], v[58:59]
	;; [unrolled: 1-line block ×3, first 2 shown]
	v_add_f64 v[54:55], v[74:75], -v[107:108]
	v_add_f64 v[58:59], v[10:11], v[44:45]
	v_add_f64 v[60:61], v[10:11], -v[44:45]
	v_fma_f64 v[50:51], v[18:19], v[87:88], -v[62:63]
	v_fma_f64 v[8:9], v[20:21], v[91:92], -v[64:65]
	;; [unrolled: 1-line block ×4, first 2 shown]
	v_add_f64 v[64:65], v[36:37], -v[28:29]
	v_add_f64 v[68:69], v[40:41], -v[24:25]
	v_fma_f64 v[32:33], v[32:33], -0.5, v[14:15]
	v_fma_f64 v[56:57], v[56:57], -0.5, v[42:43]
	v_add_f64 v[62:63], v[30:31], v[38:39]
	v_fma_f64 v[34:35], v[34:35], -0.5, v[70:71]
	v_add_f64 v[70:71], v[70:71], v[74:75]
	v_add_f64 v[66:67], v[2:3], v[6:7]
	v_fma_f64 v[79:80], v[58:59], -0.5, v[52:53]
	v_add_f64 v[81:82], v[50:51], -v[8:9]
	v_add_f64 v[74:75], v[20:21], -v[18:19]
	v_fma_f64 v[12:13], v[54:55], s[6:7], v[32:33]
	v_fma_f64 v[22:23], v[54:55], s[4:5], v[32:33]
	v_add_f64 v[32:33], v[26:27], v[30:31]
	v_fma_f64 v[54:55], v[60:61], s[6:7], v[56:57]
	v_fma_f64 v[56:57], v[60:61], s[4:5], v[56:57]
	v_fma_f64 v[83:84], v[62:63], -0.5, v[26:27]
	v_fma_f64 v[26:27], v[64:65], s[4:5], v[34:35]
	v_fma_f64 v[58:59], v[64:65], s[6:7], v[34:35]
	v_add_f64 v[87:88], v[70:71], v[107:108]
	v_fma_f64 v[66:67], v[66:67], -0.5, v[0:1]
	v_fma_f64 v[60:61], v[68:69], s[4:5], v[79:80]
	v_fma_f64 v[62:63], v[68:69], s[6:7], v[79:80]
	v_mul_f64 v[34:35], v[12:13], s[4:5]
	v_mul_f64 v[85:86], v[22:23], s[4:5]
	v_add_f64 v[32:33], v[32:33], v[38:39]
	v_mul_f64 v[68:69], v[54:55], s[4:5]
	v_mul_f64 v[79:80], v[56:57], s[4:5]
	v_fma_f64 v[89:90], v[81:82], s[4:5], v[83:84]
	v_fma_f64 v[81:82], v[81:82], s[6:7], v[83:84]
	;; [unrolled: 1-line block ×4, first 2 shown]
	v_mov_b32_e32 v74, 0x1e0
	v_mul_u32_u24_sdwa v74, v109, v74 dst_sel:DWORD dst_unused:UNUSED_PAD src0_sel:WORD_0 src1_sel:DWORD
	v_fma_f64 v[34:35], v[26:27], 0.5, v[34:35]
	v_fma_f64 v[83:84], v[58:59], -0.5, v[85:86]
	v_add_f64 v[85:86], v[32:33], v[87:88]
	v_fma_f64 v[68:69], v[60:61], 0.5, v[68:69]
	v_fma_f64 v[70:71], v[62:63], -0.5, v[79:80]
	v_add_f64 v[87:88], v[32:33], -v[87:88]
	v_mov_b32_e32 v79, 3
	v_lshlrev_b32_sdwa v75, v79, v111 dst_sel:DWORD dst_unused:UNUSED_PAD src0_sel:DWORD src1_sel:BYTE_0
	v_add3_u32 v75, 0, v74, v75
	v_mul_lo_u16 v74, v110, 60
	v_add_f64 v[91:92], v[89:90], v[34:35]
	v_add_f64 v[89:90], v[89:90], -v[34:35]
	v_add_f64 v[93:94], v[81:82], v[83:84]
	v_add_f64 v[32:33], v[64:65], -v[68:69]
	v_add_f64 v[34:35], v[66:67], -v[70:71]
	;; [unrolled: 1-line block ×3, first 2 shown]
	ds_write2_b64 v75, v[85:86], v[91:92] offset1:10
	ds_write2_b64 v75, v[93:94], v[87:88] offset0:20 offset1:30
	ds_write2_b64 v75, v[89:90], v[80:81] offset0:40 offset1:50
	s_and_saveexec_b32 s1, s0
	s_cbranch_execz .LBB0_19
; %bb.18:
	v_add_f64 v[0:1], v[0:1], v[2:3]
	v_add_f64 v[10:11], v[52:53], v[10:11]
	;; [unrolled: 1-line block ×7, first 2 shown]
	v_add_f64 v[0:1], v[0:1], -v[10:11]
	v_lshlrev_b32_sdwa v10, v79, v73 dst_sel:DWORD dst_unused:UNUSED_PAD src0_sel:DWORD src1_sel:WORD_0
	v_lshlrev_b32_sdwa v11, v79, v74 dst_sel:DWORD dst_unused:UNUSED_PAD src0_sel:DWORD src1_sel:WORD_0
	v_add3_u32 v10, 0, v10, v11
	ds_write2_b64 v10, v[64:65], v[52:53] offset1:10
	ds_write2_b64 v10, v[44:45], v[0:1] offset0:20 offset1:30
	ds_write2_b64 v10, v[32:33], v[34:35] offset0:40 offset1:50
.LBB0_19:
	s_or_b32 exec_lo, exec_lo, s1
	v_add_f64 v[0:1], v[50:51], v[8:9]
	v_add_f64 v[10:11], v[20:21], v[18:19]
	;; [unrolled: 1-line block ×3, first 2 shown]
	v_add_f64 v[30:31], v[30:31], -v[38:39]
	v_add_f64 v[14:15], v[14:15], v[36:37]
	v_mul_f64 v[12:13], v[12:13], 0.5
	v_mul_f64 v[22:23], v[22:23], -0.5
	v_add_f64 v[2:3], v[2:3], -v[6:7]
	v_mul_f64 v[6:7], v[54:55], 0.5
	v_lshl_add_u32 v79, v76, 3, 0
	v_add_nc_u32_e32 v54, 0x1600, v77
	v_add_nc_u32_e32 v52, 0x2c00, v77
	;; [unrolled: 1-line block ×3, first 2 shown]
	s_waitcnt lgkmcnt(0)
	v_add_nc_u32_e32 v80, 0x400, v79
	s_barrier
	buffer_gl0_inv
	v_fma_f64 v[0:1], v[0:1], -0.5, v[16:17]
	v_mul_f64 v[16:17], v[56:57], -0.5
	v_fma_f64 v[10:11], v[10:11], -0.5, v[4:5]
	v_add_f64 v[36:37], v[44:45], v[8:9]
	v_add_f64 v[14:15], v[14:15], v[28:29]
	v_fma_f64 v[12:13], v[26:27], s[6:7], v[12:13]
	v_fma_f64 v[38:39], v[58:59], s[6:7], v[22:23]
	v_fma_f64 v[26:27], v[60:61], s[6:7], v[6:7]
	v_fma_f64 v[55:56], v[30:31], s[6:7], v[0:1]
	v_fma_f64 v[57:58], v[30:31], s[4:5], v[0:1]
	v_fma_f64 v[30:31], v[62:63], s[6:7], v[16:17]
	v_fma_f64 v[44:45], v[2:3], s[6:7], v[10:11]
	v_fma_f64 v[50:51], v[2:3], s[4:5], v[10:11]
	ds_read_b64 v[22:23], v77
	ds_read_b64 v[28:29], v79 offset:4320
	ds_read2_b64 v[0:3], v54 offset0:16 offset1:196
	ds_read2_b64 v[6:9], v53 offset0:56 offset1:236
	v_add_f64 v[59:60], v[36:37], v[14:15]
	v_add_f64 v[61:62], v[36:37], -v[14:15]
	v_add_f64 v[63:64], v[55:56], v[12:13]
	v_add_f64 v[65:66], v[57:58], v[38:39]
	v_add_f64 v[57:58], v[57:58], -v[38:39]
	v_add_f64 v[36:37], v[44:45], -v[26:27]
	;; [unrolled: 1-line block ×4, first 2 shown]
	ds_read2_b64 v[10:13], v52 offset0:32 offset1:212
	ds_read2_b64 v[14:17], v80 offset0:52 offset1:232
	s_waitcnt lgkmcnt(0)
	s_barrier
	buffer_gl0_inv
	ds_write2_b64 v75, v[59:60], v[63:64] offset1:10
	ds_write2_b64 v75, v[65:66], v[61:62] offset0:20 offset1:30
	ds_write2_b64 v75, v[55:56], v[57:58] offset0:40 offset1:50
	s_and_saveexec_b32 s1, s0
	s_cbranch_execz .LBB0_21
; %bb.20:
	v_add_f64 v[4:5], v[4:5], v[20:21]
	v_add_f64 v[20:21], v[42:43], v[40:41]
	v_add_f64 v[4:5], v[4:5], v[18:19]
	v_add_f64 v[18:19], v[20:21], v[24:25]
	v_add_f64 v[20:21], v[44:45], v[26:27]
	v_add_f64 v[24:25], v[50:51], v[30:31]
	v_add_f64 v[26:27], v[4:5], v[18:19]
	v_add_f64 v[4:5], v[4:5], -v[18:19]
	v_mov_b32_e32 v18, 3
	v_lshlrev_b32_sdwa v19, v18, v73 dst_sel:DWORD dst_unused:UNUSED_PAD src0_sel:DWORD src1_sel:WORD_0
	v_lshlrev_b32_sdwa v18, v18, v74 dst_sel:DWORD dst_unused:UNUSED_PAD src0_sel:DWORD src1_sel:WORD_0
	v_add3_u32 v18, 0, v19, v18
	ds_write2_b64 v18, v[26:27], v[20:21] offset1:10
	ds_write2_b64 v18, v[24:25], v[4:5] offset0:20 offset1:30
	ds_write2_b64 v18, v[36:37], v[38:39] offset0:40 offset1:50
.LBB0_21:
	s_or_b32 exec_lo, exec_lo, s1
	v_mul_lo_u16 v4, 0x89, v72
	v_mov_b32_e32 v18, 9
	s_waitcnt lgkmcnt(0)
	s_barrier
	buffer_gl0_inv
	v_lshrrev_b16 v4, 13, v4
	s_mov_b32 s6, 0x134454ff
	s_mov_b32 s7, 0xbfee6f0e
	;; [unrolled: 1-line block ×4, first 2 shown]
	v_mul_lo_u16 v5, v4, 60
	s_mov_b32 s12, 0x4755a5e
	s_mov_b32 s13, 0xbfe2cf23
	;; [unrolled: 1-line block ×4, first 2 shown]
	v_sub_nc_u16 v5, v76, v5
	s_mov_b32 s1, 0xbfd3c6ef
	s_mov_b32 s0, s16
	;; [unrolled: 1-line block ×3, first 2 shown]
	v_mul_u32_u24_sdwa v18, v5, v18 dst_sel:DWORD dst_unused:UNUSED_PAD src0_sel:BYTE_0 src1_sel:DWORD
	v_lshlrev_b32_e32 v18, 4, v18
	s_clause 0x8
	global_load_dwordx4 v[40:43], v18, s[8:9] offset:832
	global_load_dwordx4 v[55:58], v18, s[8:9] offset:864
	;; [unrolled: 1-line block ×9, first 2 shown]
	ds_read_b64 v[18:19], v79 offset:4320
	ds_read2_b64 v[93:96], v54 offset0:16 offset1:196
	ds_read2_b64 v[97:100], v53 offset0:56 offset1:236
	ds_read2_b64 v[101:104], v52 offset0:32 offset1:212
	ds_read2_b64 v[50:53], v80 offset0:52 offset1:232
	s_waitcnt vmcnt(8)
	v_mul_f64 v[20:21], v[28:29], v[42:43]
	s_waitcnt vmcnt(7)
	v_mul_f64 v[24:25], v[2:3], v[57:58]
	;; [unrolled: 2-line block ×4, first 2 shown]
	s_waitcnt lgkmcnt(4)
	v_mul_f64 v[42:43], v[18:19], v[42:43]
	s_waitcnt lgkmcnt(3)
	v_mul_f64 v[57:58], v[95:96], v[57:58]
	;; [unrolled: 2-line block ×4, first 2 shown]
	s_waitcnt vmcnt(4)
	v_mul_f64 v[105:106], v[14:15], v[69:70]
	s_waitcnt lgkmcnt(0)
	v_mul_f64 v[69:70], v[50:51], v[69:70]
	v_fma_f64 v[26:27], v[18:19], v[40:41], -v[20:21]
	v_fma_f64 v[24:25], v[95:96], v[55:56], -v[24:25]
	;; [unrolled: 1-line block ×4, first 2 shown]
	s_waitcnt vmcnt(3)
	v_mul_f64 v[30:31], v[52:53], v[73:74]
	s_waitcnt vmcnt(2)
	v_mul_f64 v[44:45], v[93:94], v[83:84]
	;; [unrolled: 2-line block ×4, first 2 shown]
	v_fma_f64 v[40:41], v[28:29], v[40:41], v[42:43]
	v_fma_f64 v[2:3], v[2:3], v[55:56], v[57:58]
	;; [unrolled: 1-line block ×4, first 2 shown]
	v_fma_f64 v[28:29], v[50:51], v[67:68], -v[105:106]
	v_mul_f64 v[58:59], v[16:17], v[73:74]
	v_mul_f64 v[60:61], v[0:1], v[83:84]
	;; [unrolled: 1-line block ×4, first 2 shown]
	v_add_f64 v[74:75], v[24:25], -v[26:27]
	v_add_f64 v[54:55], v[24:25], v[20:21]
	v_add_f64 v[56:57], v[26:27], v[18:19]
	v_fma_f64 v[42:43], v[16:17], v[71:72], v[30:31]
	v_fma_f64 v[16:17], v[0:1], v[81:82], v[44:45]
	;; [unrolled: 1-line block ×5, first 2 shown]
	v_add_f64 v[83:84], v[24:25], -v[20:21]
	v_add_f64 v[6:7], v[2:3], v[8:9]
	v_add_f64 v[10:11], v[40:41], v[12:13]
	v_add_f64 v[14:15], v[40:41], -v[12:13]
	v_add_f64 v[44:45], v[2:3], -v[8:9]
	;; [unrolled: 1-line block ×3, first 2 shown]
	v_fma_f64 v[66:67], v[54:55], -0.5, v[28:29]
	v_fma_f64 v[68:69], v[56:57], -0.5, v[28:29]
	v_fma_f64 v[56:57], v[52:53], v[71:72], -v[58:59]
	v_fma_f64 v[52:53], v[101:102], v[89:90], -v[62:63]
	;; [unrolled: 1-line block ×4, first 2 shown]
	v_add_f64 v[60:61], v[16:17], v[30:31]
	v_add_f64 v[62:63], v[42:43], v[50:51]
	v_add_f64 v[64:65], v[26:27], -v[18:19]
	v_add_f64 v[70:71], v[26:27], -v[24:25]
	;; [unrolled: 1-line block ×4, first 2 shown]
	v_fma_f64 v[6:7], v[6:7], -0.5, v[0:1]
	v_fma_f64 v[10:11], v[10:11], -0.5, v[0:1]
	v_add_f64 v[0:1], v[0:1], v[40:41]
	v_add_f64 v[89:90], v[22:23], v[42:43]
	v_add_f64 v[93:94], v[40:41], -v[2:3]
	v_add_f64 v[40:41], v[2:3], -v[40:41]
	v_add_f64 v[97:98], v[8:9], -v[12:13]
	v_add_f64 v[101:102], v[16:17], -v[42:43]
	v_add_f64 v[103:104], v[30:31], -v[50:51]
	v_fma_f64 v[85:86], v[14:15], s[4:5], v[66:67]
	v_fma_f64 v[87:88], v[44:45], s[6:7], v[68:69]
	;; [unrolled: 1-line block ×4, first 2 shown]
	v_add_f64 v[91:92], v[56:57], -v[52:53]
	v_add_f64 v[99:100], v[58:59], -v[54:55]
	v_fma_f64 v[60:61], v[60:61], -0.5, v[22:23]
	v_fma_f64 v[22:23], v[62:63], -0.5, v[22:23]
	v_add_f64 v[62:63], v[70:71], v[72:73]
	v_add_f64 v[74:75], v[74:75], v[81:82]
	v_fma_f64 v[70:71], v[64:65], s[6:7], v[6:7]
	v_fma_f64 v[6:7], v[64:65], s[4:5], v[6:7]
	;; [unrolled: 1-line block ×4, first 2 shown]
	v_add_f64 v[0:1], v[0:1], v[2:3]
	v_add_f64 v[2:3], v[93:94], v[95:96]
	;; [unrolled: 1-line block ×4, first 2 shown]
	v_fma_f64 v[81:82], v[44:45], s[10:11], v[85:86]
	v_fma_f64 v[85:86], v[14:15], s[10:11], v[87:88]
	;; [unrolled: 1-line block ×4, first 2 shown]
	v_add_f64 v[66:67], v[42:43], -v[16:17]
	v_add_f64 v[87:88], v[50:51], -v[30:31]
	v_fma_f64 v[93:94], v[91:92], s[6:7], v[60:61]
	v_fma_f64 v[60:61], v[91:92], s[4:5], v[60:61]
	;; [unrolled: 1-line block ×8, first 2 shown]
	v_add_f64 v[0:1], v[0:1], v[8:9]
	v_fma_f64 v[72:73], v[62:63], s[16:17], v[81:82]
	v_fma_f64 v[70:71], v[74:75], s[16:17], v[85:86]
	;; [unrolled: 1-line block ×4, first 2 shown]
	v_add_f64 v[74:75], v[89:90], v[30:31]
	v_add_f64 v[14:15], v[66:67], v[87:88]
	v_fma_f64 v[8:9], v[99:100], s[12:13], v[93:94]
	v_fma_f64 v[81:82], v[99:100], s[10:11], v[60:61]
	v_add_f64 v[44:45], v[101:102], v[103:104]
	v_fma_f64 v[87:88], v[91:92], s[10:11], v[22:23]
	v_fma_f64 v[85:86], v[91:92], s[12:13], v[95:96]
	;; [unrolled: 1-line block ×6, first 2 shown]
	v_add_f64 v[0:1], v[0:1], v[12:13]
	v_add_nc_u32_e32 v83, 0x2a00, v77
	v_mul_f64 v[2:3], v[72:73], s[12:13]
	v_mul_f64 v[6:7], v[70:71], s[6:7]
	;; [unrolled: 1-line block ×4, first 2 shown]
	v_add_f64 v[74:75], v[74:75], v[50:51]
	v_fma_f64 v[8:9], v[14:15], s[16:17], v[8:9]
	v_fma_f64 v[12:13], v[14:15], s[16:17], v[81:82]
	v_mov_b32_e32 v81, 0x12c0
	v_mov_b32_e32 v82, 3
	v_fma_f64 v[14:15], v[44:45], s[16:17], v[85:86]
	v_fma_f64 v[44:45], v[44:45], s[16:17], v[87:88]
	v_mul_u32_u24_sdwa v4, v4, v81 dst_sel:DWORD dst_unused:UNUSED_PAD src0_sel:WORD_0 src1_sel:DWORD
	v_lshlrev_b32_sdwa v5, v82, v5 dst_sel:DWORD dst_unused:UNUSED_PAD src0_sel:DWORD src1_sel:BYTE_0
	v_add_nc_u32_e32 v81, 0x1200, v77
	v_add_nc_u32_e32 v82, 0x1e00, v77
	v_add3_u32 v84, 0, v4, v5
	v_fma_f64 v[2:3], v[60:61], s[18:19], v[2:3]
	v_fma_f64 v[6:7], v[64:65], s[16:17], v[6:7]
	;; [unrolled: 1-line block ×4, first 2 shown]
	v_add_f64 v[87:88], v[74:75], v[0:1]
	v_add_f64 v[0:1], v[74:75], -v[0:1]
	v_add_nc_u32_e32 v4, 0x400, v84
	v_add_nc_u32_e32 v85, 0x800, v84
	;; [unrolled: 1-line block ×3, first 2 shown]
	ds_read_b64 v[74:75], v77
	s_waitcnt lgkmcnt(0)
	s_barrier
	buffer_gl0_inv
	v_cmp_gt_u32_e64 s0, 60, v76
	v_add_f64 v[89:90], v[8:9], v[2:3]
	v_add_f64 v[91:92], v[14:15], v[6:7]
	;; [unrolled: 1-line block ×4, first 2 shown]
	v_add_f64 v[2:3], v[8:9], -v[2:3]
	v_add_f64 v[6:7], v[14:15], -v[6:7]
	;; [unrolled: 1-line block ×4, first 2 shown]
	ds_write2_b64 v84, v[87:88], v[89:90] offset1:60
	ds_write2_b64 v84, v[91:92], v[93:94] offset0:120 offset1:180
	ds_write2_b64 v4, v[95:96], v[0:1] offset0:112 offset1:172
	;; [unrolled: 1-line block ×4, first 2 shown]
	s_waitcnt lgkmcnt(0)
	s_barrier
	buffer_gl0_inv
	ds_read_b64 v[44:45], v77
	ds_read2_b64 v[12:15], v81 offset0:24 offset1:204
	ds_read2_b64 v[4:7], v82 offset1:240
	ds_read2_b64 v[0:3], v80 offset0:52 offset1:232
	ds_read2_b64 v[8:11], v83 offset0:36 offset1:216
	s_and_saveexec_b32 s1, s0
	s_cbranch_execz .LBB0_23
; %bb.22:
	ds_read_b64 v[40:41], v79 offset:4320
	ds_read_b64 v[32:33], v77 offset:9120
	;; [unrolled: 1-line block ×3, first 2 shown]
.LBB0_23:
	s_or_b32 exec_lo, exec_lo, s1
	v_add_f64 v[87:88], v[58:59], v[54:55]
	v_add_f64 v[89:90], v[56:57], v[52:53]
	;; [unrolled: 1-line block ×3, first 2 shown]
	v_add_f64 v[42:43], v[42:43], -v[50:51]
	v_add_f64 v[26:27], v[28:29], v[26:27]
	v_add_f64 v[16:17], v[16:17], -v[30:31]
	v_add_f64 v[50:51], v[56:57], -v[58:59]
	;; [unrolled: 1-line block ×3, first 2 shown]
	v_mul_f64 v[72:73], v[72:73], s[18:19]
	v_mul_f64 v[62:63], v[62:63], s[18:19]
	;; [unrolled: 1-line block ×4, first 2 shown]
	s_waitcnt lgkmcnt(0)
	s_barrier
	buffer_gl0_inv
	v_fma_f64 v[28:29], v[87:88], -0.5, v[74:75]
	v_fma_f64 v[30:31], v[89:90], -0.5, v[74:75]
	v_add_f64 v[74:75], v[52:53], -v[54:55]
	v_add_f64 v[58:59], v[91:92], v[58:59]
	v_add_f64 v[24:25], v[26:27], v[24:25]
	v_add_f64 v[26:27], v[54:55], -v[52:53]
	v_fma_f64 v[87:88], v[42:43], s[4:5], v[28:29]
	v_fma_f64 v[89:90], v[16:17], s[6:7], v[30:31]
	;; [unrolled: 1-line block ×4, first 2 shown]
	v_add_f64 v[50:51], v[50:51], v[74:75]
	v_add_f64 v[54:55], v[58:59], v[54:55]
	;; [unrolled: 1-line block ×4, first 2 shown]
	v_fma_f64 v[58:59], v[66:67], s[4:5], -v[68:69]
	v_fma_f64 v[26:27], v[16:17], s[10:11], v[87:88]
	v_fma_f64 v[56:57], v[42:43], s[10:11], v[89:90]
	v_fma_f64 v[30:31], v[42:43], s[12:13], v[30:31]
	v_fma_f64 v[16:17], v[16:17], s[12:13], v[28:29]
	v_fma_f64 v[28:29], v[60:61], s[10:11], v[72:73]
	v_add_f64 v[52:53], v[54:55], v[52:53]
	v_add_f64 v[18:19], v[20:21], v[18:19]
	v_fma_f64 v[20:21], v[22:23], s[10:11], -v[62:63]
	v_fma_f64 v[42:43], v[64:65], s[4:5], v[70:71]
	v_fma_f64 v[22:23], v[50:51], s[16:17], v[26:27]
	;; [unrolled: 1-line block ×5, first 2 shown]
	v_add_f64 v[30:31], v[52:53], v[18:19]
	v_add_f64 v[18:19], v[52:53], -v[18:19]
	v_add_f64 v[50:51], v[22:23], v[28:29]
	v_add_f64 v[52:53], v[26:27], v[42:43]
	;; [unrolled: 1-line block ×4, first 2 shown]
	v_add_f64 v[22:23], v[22:23], -v[28:29]
	v_add_f64 v[26:27], v[26:27], -v[42:43]
	;; [unrolled: 1-line block ×4, first 2 shown]
	v_add_nc_u32_e32 v16, 0x400, v84
	v_add_nc_u32_e32 v17, 0x400, v79
	ds_write2_b64 v84, v[30:31], v[50:51] offset1:60
	ds_write2_b64 v84, v[52:53], v[54:55] offset0:120 offset1:180
	ds_write2_b64 v16, v[56:57], v[18:19] offset0:112 offset1:172
	;; [unrolled: 1-line block ×4, first 2 shown]
	s_waitcnt lgkmcnt(0)
	s_barrier
	buffer_gl0_inv
	ds_read_b64 v[52:53], v77
	ds_read2_b64 v[20:23], v81 offset0:24 offset1:204
	ds_read2_b64 v[28:31], v82 offset1:240
	ds_read2_b64 v[16:19], v17 offset0:52 offset1:232
	ds_read2_b64 v[24:27], v83 offset0:36 offset1:216
	s_and_saveexec_b32 s1, s0
	s_cbranch_execz .LBB0_25
; %bb.24:
	ds_read_b64 v[42:43], v79 offset:4320
	ds_read_b64 v[36:37], v77 offset:9120
	;; [unrolled: 1-line block ×3, first 2 shown]
.LBB0_25:
	s_or_b32 exec_lo, exec_lo, s1
	s_and_saveexec_b32 s1, vcc_lo
	s_cbranch_execz .LBB0_28
; %bb.26:
	v_lshlrev_b32_e32 v54, 1, v76
	v_mov_b32_e32 v51, 0
	v_mul_hi_u32 v81, 0x1b4e81b5, v76
	v_add_nc_u32_e32 v96, 0x168, v76
	v_mul_lo_u32 v83, s2, v49
	v_add_nc_u32_e32 v50, 0x2d0, v54
	v_mov_b32_e32 v55, v51
	v_add_nc_u32_e32 v95, 0xb4, v76
	v_mul_hi_u32 v84, 0x1b4e81b5, v96
	s_mov_b32 s5, 0x3febb67a
	v_lshlrev_b64 v[56:57], 4, v[50:51]
	v_lshlrev_b32_e32 v50, 1, v78
	v_lshlrev_b64 v[62:63], 4, v[54:55]
	v_lshrrev_b32_e32 v85, 6, v81
	v_mov_b32_e32 v81, v51
	v_mov_b32_e32 v82, v51
	v_add_co_u32 v56, vcc_lo, s8, v56
	v_add_co_ci_u32_e32 v57, vcc_lo, s9, v57, vcc_lo
	v_lshlrev_b64 v[54:55], 4, v[50:51]
	v_add_co_u32 v58, vcc_lo, 0x24e0, v56
	v_add_co_ci_u32_e32 v59, vcc_lo, 0, v57, vcc_lo
	v_add_co_u32 v56, vcc_lo, 0x2000, v56
	v_add_co_ci_u32_e32 v57, vcc_lo, 0, v57, vcc_lo
	;; [unrolled: 2-line block ×8, first 2 shown]
	s_clause 0x5
	global_load_dwordx4 v[54:57], v[56:57], off offset:1248
	global_load_dwordx4 v[58:61], v[58:59], off offset:16
	;; [unrolled: 1-line block ×6, first 2 shown]
	v_mul_lo_u32 v50, s3, v48
	v_mad_u64_u32 v[48:49], null, s2, v48, 0
	v_lshrrev_b32_e32 v98, 6, v84
	v_lshlrev_b64 v[74:75], 4, v[46:47]
	v_mul_hi_u32 v47, 0x1b4e81b5, v95
	s_mov_b32 s2, 0xe8584caa
	s_mov_b32 s3, 0xbfebb67a
	v_mul_u32_u24_e32 v99, 0x258, v98
	v_add3_u32 v49, v49, v83, v50
	v_mul_u32_u24_e32 v50, 0x258, v85
	s_mov_b32 s4, s2
	v_add_nc_u32_e32 v46, 0x21c, v76
	v_lshrrev_b32_e32 v97, 6, v47
	v_lshlrev_b64 v[47:48], 4, v[48:49]
	v_sub_nc_u32_e32 v49, v76, v50
	v_cmp_gt_u32_e32 vcc_lo, 0x258, v46
	v_mul_u32_u24_e32 v50, 0x258, v97
	v_add_co_u32 v47, s1, s14, v47
	v_add_co_ci_u32_e64 v100, s1, s15, v48, s1
	v_lshlrev_b32_e32 v101, 4, v49
	v_sub_nc_u32_e32 v50, v95, v50
	v_add_co_u32 v48, s1, v47, v74
	v_add_co_ci_u32_e64 v49, s1, v100, v75, s1
	v_mad_u32_u24 v50, 0x708, v97, v50
	v_sub_nc_u32_e32 v95, v96, v99
	s_waitcnt vmcnt(3)
	v_mul_f64 v[87:88], v[12:13], v[64:65]
	s_waitcnt vmcnt(2)
	v_mul_f64 v[89:90], v[6:7], v[68:69]
	s_waitcnt lgkmcnt(3)
	v_mul_f64 v[64:65], v[20:21], v[64:65]
	s_waitcnt lgkmcnt(2)
	v_mul_f64 v[68:69], v[30:31], v[68:69]
	s_waitcnt vmcnt(1)
	v_mul_f64 v[91:92], v[14:15], v[72:73]
	s_waitcnt vmcnt(0)
	v_mul_f64 v[93:94], v[8:9], v[79:80]
	v_mul_f64 v[72:73], v[22:23], v[72:73]
	s_waitcnt lgkmcnt(0)
	v_mul_f64 v[79:80], v[24:25], v[79:80]
	v_mul_f64 v[83:84], v[4:5], v[56:57]
	;; [unrolled: 1-line block ×5, first 2 shown]
	v_fma_f64 v[20:21], v[20:21], v[62:63], -v[87:88]
	v_fma_f64 v[30:31], v[30:31], v[66:67], -v[89:90]
	v_fma_f64 v[12:13], v[12:13], v[62:63], v[64:65]
	v_fma_f64 v[62:63], v[6:7], v[66:67], v[68:69]
	v_fma_f64 v[6:7], v[22:23], v[70:71], -v[91:92]
	v_fma_f64 v[22:23], v[24:25], v[77:78], -v[93:94]
	v_fma_f64 v[14:15], v[14:15], v[70:71], v[72:73]
	v_fma_f64 v[8:9], v[8:9], v[77:78], v[79:80]
	v_fma_f64 v[28:29], v[28:29], v[54:55], -v[83:84]
	v_fma_f64 v[26:27], v[26:27], v[58:59], -v[85:86]
	v_fma_f64 v[4:5], v[4:5], v[54:55], v[56:57]
	v_fma_f64 v[10:11], v[10:11], v[58:59], v[60:61]
	v_add_co_u32 v64, s1, v48, v101
	v_add_co_ci_u32_e64 v65, s1, 0, v49, s1
	v_lshlrev_b64 v[24:25], 4, v[50:51]
	v_add_co_u32 v56, s1, 0x2000, v64
	v_add_co_ci_u32_e64 v57, s1, 0, v65, s1
	v_add_co_u32 v58, s1, 0x4800, v64
	v_add_f64 v[68:69], v[20:21], v[30:31]
	v_add_co_ci_u32_e64 v59, s1, 0, v65, s1
	v_add_f64 v[70:71], v[12:13], v[62:63]
	v_add_f64 v[72:73], v[6:7], v[22:23]
	v_add_co_u32 v77, s1, v48, v24
	v_add_f64 v[74:75], v[14:15], v[8:9]
	v_add_f64 v[66:67], v[28:29], v[26:27]
	v_add_co_ci_u32_e64 v78, s1, v49, v25, s1
	v_add_f64 v[24:25], v[4:5], v[10:11]
	v_add_nc_u32_e32 v80, 0x258, v50
	v_add_nc_u32_e32 v50, 0x4b0, v50
	v_add_f64 v[83:84], v[4:5], -v[10:11]
	v_add_f64 v[4:5], v[2:3], v[4:5]
	v_add_f64 v[87:88], v[12:13], -v[62:63]
	v_add_f64 v[89:90], v[52:53], v[20:21]
	v_add_f64 v[12:13], v[44:45], v[12:13]
	v_add_f64 v[20:21], v[20:21], -v[30:31]
	v_add_f64 v[93:94], v[16:17], v[6:7]
	v_add_f64 v[91:92], v[14:15], -v[8:9]
	v_fma_f64 v[52:53], v[68:69], -0.5, v[52:53]
	v_add_f64 v[14:15], v[0:1], v[14:15]
	v_lshlrev_b64 v[60:61], 4, v[50:51]
	v_fma_f64 v[44:45], v[70:71], -0.5, v[44:45]
	v_mad_u32_u24 v50, 0x708, v98, v95
	v_add_f64 v[95:96], v[6:7], -v[22:23]
	v_fma_f64 v[68:69], v[72:73], -0.5, v[16:17]
	v_fma_f64 v[70:71], v[74:75], -0.5, v[0:1]
	v_add_f64 v[85:86], v[18:19], v[28:29]
	v_fma_f64 v[66:67], v[66:67], -0.5, v[18:19]
	v_add_f64 v[74:75], v[28:29], -v[26:27]
	v_fma_f64 v[97:98], v[24:25], -0.5, v[2:3]
	v_lshlrev_b64 v[54:55], 4, v[80:81]
	v_add_nc_u32_e32 v81, 0x258, v50
	v_lshlrev_b64 v[79:80], 4, v[50:51]
	v_add_f64 v[0:1], v[4:5], v[10:11]
	v_add_nc_u32_e32 v50, 0x4b0, v50
	v_add_f64 v[6:7], v[89:90], v[30:31]
	v_add_f64 v[4:5], v[12:13], v[62:63]
	v_add_co_u32 v72, s1, v48, v54
	v_add_f64 v[10:11], v[93:94], v[22:23]
	v_fma_f64 v[22:23], v[87:88], s[4:5], v[52:53]
	v_fma_f64 v[18:19], v[87:88], s[2:3], v[52:53]
	v_add_f64 v[8:9], v[14:15], v[8:9]
	v_fma_f64 v[16:17], v[20:21], s[4:5], v[44:45]
	v_fma_f64 v[20:21], v[20:21], s[2:3], v[44:45]
	v_add_co_ci_u32_e64 v73, s1, v49, v55, s1
	v_fma_f64 v[30:31], v[91:92], s[4:5], v[68:69]
	v_fma_f64 v[28:29], v[95:96], s[2:3], v[70:71]
	v_add_f64 v[2:3], v[85:86], v[26:27]
	v_fma_f64 v[26:27], v[91:92], s[2:3], v[68:69]
	v_fma_f64 v[24:25], v[95:96], s[4:5], v[70:71]
	;; [unrolled: 1-line block ×6, first 2 shown]
	v_add_co_u32 v60, s1, v48, v60
	v_lshlrev_b64 v[81:82], 4, v[81:82]
	v_add_co_ci_u32_e64 v61, s1, v49, v61, s1
	v_lshlrev_b64 v[44:45], 4, v[50:51]
	v_add_co_u32 v62, s1, v48, v79
	v_add_co_ci_u32_e64 v63, s1, v49, v80, s1
	v_add_co_u32 v66, s1, v48, v81
	v_add_co_ci_u32_e64 v67, s1, v49, v82, s1
	;; [unrolled: 2-line block ×3, first 2 shown]
	global_store_dwordx4 v[64:65], v[4:7], off
	global_store_dwordx4 v[56:57], v[20:23], off offset:1408
	global_store_dwordx4 v[58:59], v[16:19], off offset:768
	global_store_dwordx4 v[77:78], v[8:11], off
	global_store_dwordx4 v[72:73], v[28:31], off
	;; [unrolled: 1-line block ×6, first 2 shown]
	s_and_b32 exec_lo, exec_lo, vcc_lo
	s_cbranch_execz .LBB0_28
; %bb.27:
	v_mov_b32_e32 v0, 0x21c
	v_mov_b32_e32 v47, v51
	v_cndmask_b32_e64 v0, 0xffffffc4, v0, s0
	v_add_lshl_u32 v50, v76, v0, 1
	v_lshlrev_b64 v[0:1], 4, v[50:51]
	v_add_nc_u32_e32 v50, 0x474, v76
	v_add_co_u32 v2, vcc_lo, s8, v0
	v_add_co_ci_u32_e32 v3, vcc_lo, s9, v1, vcc_lo
	v_add_co_u32 v0, vcc_lo, 0x2000, v2
	v_add_co_ci_u32_e32 v1, vcc_lo, 0, v3, vcc_lo
	;; [unrolled: 2-line block ×3, first 2 shown]
	s_clause 0x1
	global_load_dwordx4 v[0:3], v[0:1], off offset:1248
	global_load_dwordx4 v[4:7], v[4:5], off offset:16
	s_waitcnt vmcnt(1)
	v_mul_f64 v[8:9], v[36:37], v[2:3]
	s_waitcnt vmcnt(0)
	v_mul_f64 v[10:11], v[38:39], v[6:7]
	v_mul_f64 v[2:3], v[32:33], v[2:3]
	;; [unrolled: 1-line block ×3, first 2 shown]
	v_fma_f64 v[8:9], v[32:33], v[0:1], v[8:9]
	v_fma_f64 v[10:11], v[34:35], v[4:5], v[10:11]
	v_fma_f64 v[0:1], v[36:37], v[0:1], -v[2:3]
	v_fma_f64 v[2:3], v[38:39], v[4:5], -v[6:7]
	v_add_f64 v[12:13], v[40:41], v[8:9]
	v_add_f64 v[4:5], v[8:9], v[10:11]
	;; [unrolled: 1-line block ×4, first 2 shown]
	v_add_f64 v[14:15], v[0:1], -v[2:3]
	v_add_f64 v[20:21], v[8:9], -v[10:11]
	v_add_f64 v[0:1], v[12:13], v[10:11]
	v_fma_f64 v[18:19], v[4:5], -0.5, v[40:41]
	v_add_f64 v[2:3], v[16:17], v[2:3]
	v_fma_f64 v[22:23], v[6:7], -0.5, v[42:43]
	v_lshlrev_b64 v[12:13], 4, v[46:47]
	v_add_co_u32 v12, vcc_lo, v48, v12
	v_add_co_ci_u32_e32 v13, vcc_lo, v49, v13, vcc_lo
	v_fma_f64 v[4:5], v[14:15], s[2:3], v[18:19]
	v_fma_f64 v[8:9], v[14:15], s[4:5], v[18:19]
	;; [unrolled: 1-line block ×4, first 2 shown]
	v_lshlrev_b64 v[14:15], 4, v[50:51]
	v_add_nc_u32_e32 v50, 0x6cc, v76
	v_lshlrev_b64 v[16:17], 4, v[50:51]
	v_add_co_u32 v14, vcc_lo, v48, v14
	v_add_co_ci_u32_e32 v15, vcc_lo, v49, v15, vcc_lo
	v_add_co_u32 v16, vcc_lo, v48, v16
	v_add_co_ci_u32_e32 v17, vcc_lo, v49, v17, vcc_lo
	global_store_dwordx4 v[12:13], v[0:3], off
	global_store_dwordx4 v[14:15], v[4:7], off
	;; [unrolled: 1-line block ×3, first 2 shown]
.LBB0_28:
	s_endpgm
	.section	.rodata,"a",@progbits
	.p2align	6, 0x0
	.amdhsa_kernel fft_rtc_back_len1800_factors_10_6_10_3_wgs_180_tpt_180_halfLds_dp_op_CI_CI_unitstride_sbrr_dirReg
		.amdhsa_group_segment_fixed_size 0
		.amdhsa_private_segment_fixed_size 0
		.amdhsa_kernarg_size 104
		.amdhsa_user_sgpr_count 6
		.amdhsa_user_sgpr_private_segment_buffer 1
		.amdhsa_user_sgpr_dispatch_ptr 0
		.amdhsa_user_sgpr_queue_ptr 0
		.amdhsa_user_sgpr_kernarg_segment_ptr 1
		.amdhsa_user_sgpr_dispatch_id 0
		.amdhsa_user_sgpr_flat_scratch_init 0
		.amdhsa_user_sgpr_private_segment_size 0
		.amdhsa_wavefront_size32 1
		.amdhsa_uses_dynamic_stack 0
		.amdhsa_system_sgpr_private_segment_wavefront_offset 0
		.amdhsa_system_sgpr_workgroup_id_x 1
		.amdhsa_system_sgpr_workgroup_id_y 0
		.amdhsa_system_sgpr_workgroup_id_z 0
		.amdhsa_system_sgpr_workgroup_info 0
		.amdhsa_system_vgpr_workitem_id 0
		.amdhsa_next_free_vgpr 112
		.amdhsa_next_free_sgpr 27
		.amdhsa_reserve_vcc 1
		.amdhsa_reserve_flat_scratch 0
		.amdhsa_float_round_mode_32 0
		.amdhsa_float_round_mode_16_64 0
		.amdhsa_float_denorm_mode_32 3
		.amdhsa_float_denorm_mode_16_64 3
		.amdhsa_dx10_clamp 1
		.amdhsa_ieee_mode 1
		.amdhsa_fp16_overflow 0
		.amdhsa_workgroup_processor_mode 1
		.amdhsa_memory_ordered 1
		.amdhsa_forward_progress 0
		.amdhsa_shared_vgpr_count 0
		.amdhsa_exception_fp_ieee_invalid_op 0
		.amdhsa_exception_fp_denorm_src 0
		.amdhsa_exception_fp_ieee_div_zero 0
		.amdhsa_exception_fp_ieee_overflow 0
		.amdhsa_exception_fp_ieee_underflow 0
		.amdhsa_exception_fp_ieee_inexact 0
		.amdhsa_exception_int_div_zero 0
	.end_amdhsa_kernel
	.text
.Lfunc_end0:
	.size	fft_rtc_back_len1800_factors_10_6_10_3_wgs_180_tpt_180_halfLds_dp_op_CI_CI_unitstride_sbrr_dirReg, .Lfunc_end0-fft_rtc_back_len1800_factors_10_6_10_3_wgs_180_tpt_180_halfLds_dp_op_CI_CI_unitstride_sbrr_dirReg
                                        ; -- End function
	.section	.AMDGPU.csdata,"",@progbits
; Kernel info:
; codeLenInByte = 8924
; NumSgprs: 29
; NumVgprs: 112
; ScratchSize: 0
; MemoryBound: 1
; FloatMode: 240
; IeeeMode: 1
; LDSByteSize: 0 bytes/workgroup (compile time only)
; SGPRBlocks: 3
; VGPRBlocks: 13
; NumSGPRsForWavesPerEU: 29
; NumVGPRsForWavesPerEU: 112
; Occupancy: 9
; WaveLimiterHint : 1
; COMPUTE_PGM_RSRC2:SCRATCH_EN: 0
; COMPUTE_PGM_RSRC2:USER_SGPR: 6
; COMPUTE_PGM_RSRC2:TRAP_HANDLER: 0
; COMPUTE_PGM_RSRC2:TGID_X_EN: 1
; COMPUTE_PGM_RSRC2:TGID_Y_EN: 0
; COMPUTE_PGM_RSRC2:TGID_Z_EN: 0
; COMPUTE_PGM_RSRC2:TIDIG_COMP_CNT: 0
	.text
	.p2alignl 6, 3214868480
	.fill 48, 4, 3214868480
	.type	__hip_cuid_eb473211f22ea5e6,@object ; @__hip_cuid_eb473211f22ea5e6
	.section	.bss,"aw",@nobits
	.globl	__hip_cuid_eb473211f22ea5e6
__hip_cuid_eb473211f22ea5e6:
	.byte	0                               ; 0x0
	.size	__hip_cuid_eb473211f22ea5e6, 1

	.ident	"AMD clang version 19.0.0git (https://github.com/RadeonOpenCompute/llvm-project roc-6.4.0 25133 c7fe45cf4b819c5991fe208aaa96edf142730f1d)"
	.section	".note.GNU-stack","",@progbits
	.addrsig
	.addrsig_sym __hip_cuid_eb473211f22ea5e6
	.amdgpu_metadata
---
amdhsa.kernels:
  - .args:
      - .actual_access:  read_only
        .address_space:  global
        .offset:         0
        .size:           8
        .value_kind:     global_buffer
      - .offset:         8
        .size:           8
        .value_kind:     by_value
      - .actual_access:  read_only
        .address_space:  global
        .offset:         16
        .size:           8
        .value_kind:     global_buffer
      - .actual_access:  read_only
        .address_space:  global
        .offset:         24
        .size:           8
        .value_kind:     global_buffer
      - .actual_access:  read_only
        .address_space:  global
        .offset:         32
        .size:           8
        .value_kind:     global_buffer
      - .offset:         40
        .size:           8
        .value_kind:     by_value
      - .actual_access:  read_only
        .address_space:  global
        .offset:         48
        .size:           8
        .value_kind:     global_buffer
      - .actual_access:  read_only
        .address_space:  global
        .offset:         56
        .size:           8
        .value_kind:     global_buffer
      - .offset:         64
        .size:           4
        .value_kind:     by_value
      - .actual_access:  read_only
        .address_space:  global
        .offset:         72
        .size:           8
        .value_kind:     global_buffer
      - .actual_access:  read_only
        .address_space:  global
        .offset:         80
        .size:           8
        .value_kind:     global_buffer
      - .actual_access:  read_only
        .address_space:  global
        .offset:         88
        .size:           8
        .value_kind:     global_buffer
      - .actual_access:  write_only
        .address_space:  global
        .offset:         96
        .size:           8
        .value_kind:     global_buffer
    .group_segment_fixed_size: 0
    .kernarg_segment_align: 8
    .kernarg_segment_size: 104
    .language:       OpenCL C
    .language_version:
      - 2
      - 0
    .max_flat_workgroup_size: 180
    .name:           fft_rtc_back_len1800_factors_10_6_10_3_wgs_180_tpt_180_halfLds_dp_op_CI_CI_unitstride_sbrr_dirReg
    .private_segment_fixed_size: 0
    .sgpr_count:     29
    .sgpr_spill_count: 0
    .symbol:         fft_rtc_back_len1800_factors_10_6_10_3_wgs_180_tpt_180_halfLds_dp_op_CI_CI_unitstride_sbrr_dirReg.kd
    .uniform_work_group_size: 1
    .uses_dynamic_stack: false
    .vgpr_count:     112
    .vgpr_spill_count: 0
    .wavefront_size: 32
    .workgroup_processor_mode: 1
amdhsa.target:   amdgcn-amd-amdhsa--gfx1030
amdhsa.version:
  - 1
  - 2
...

	.end_amdgpu_metadata
